;; amdgpu-corpus repo=ROCm/rocFFT kind=compiled arch=gfx1100 opt=O3
	.text
	.amdgcn_target "amdgcn-amd-amdhsa--gfx1100"
	.amdhsa_code_object_version 6
	.protected	fft_rtc_back_len528_factors_4_4_3_11_wgs_48_tpt_48_halfLds_sp_op_CI_CI_unitstride_sbrr_R2C_dirReg ; -- Begin function fft_rtc_back_len528_factors_4_4_3_11_wgs_48_tpt_48_halfLds_sp_op_CI_CI_unitstride_sbrr_R2C_dirReg
	.globl	fft_rtc_back_len528_factors_4_4_3_11_wgs_48_tpt_48_halfLds_sp_op_CI_CI_unitstride_sbrr_R2C_dirReg
	.p2align	8
	.type	fft_rtc_back_len528_factors_4_4_3_11_wgs_48_tpt_48_halfLds_sp_op_CI_CI_unitstride_sbrr_R2C_dirReg,@function
fft_rtc_back_len528_factors_4_4_3_11_wgs_48_tpt_48_halfLds_sp_op_CI_CI_unitstride_sbrr_R2C_dirReg: ; @fft_rtc_back_len528_factors_4_4_3_11_wgs_48_tpt_48_halfLds_sp_op_CI_CI_unitstride_sbrr_R2C_dirReg
; %bb.0:
	s_clause 0x2
	s_load_b128 s[8:11], s[0:1], 0x0
	s_load_b128 s[4:7], s[0:1], 0x58
	;; [unrolled: 1-line block ×3, first 2 shown]
	v_mul_u32_u24_e32 v1, 0x556, v0
	v_mov_b32_e32 v3, 0
	s_delay_alu instid0(VALU_DEP_2) | instskip(NEXT) | instid1(VALU_DEP_1)
	v_lshrrev_b32_e32 v1, 16, v1
	v_add_nc_u32_e32 v5, s15, v1
	v_mov_b32_e32 v1, 0
	v_mov_b32_e32 v2, 0
	;; [unrolled: 1-line block ×3, first 2 shown]
	s_waitcnt lgkmcnt(0)
	v_cmp_lt_u64_e64 s2, s[10:11], 2
	s_delay_alu instid0(VALU_DEP_1)
	s_and_b32 vcc_lo, exec_lo, s2
	s_cbranch_vccnz .LBB0_8
; %bb.1:
	s_load_b64 s[2:3], s[0:1], 0x10
	v_mov_b32_e32 v1, 0
	v_mov_b32_e32 v2, 0
	s_add_u32 s12, s18, 8
	s_addc_u32 s13, s19, 0
	s_add_u32 s14, s16, 8
	s_addc_u32 s15, s17, 0
	v_dual_mov_b32 v37, v2 :: v_dual_mov_b32 v36, v1
	s_mov_b64 s[22:23], 1
	s_waitcnt lgkmcnt(0)
	s_add_u32 s20, s2, 8
	s_addc_u32 s21, s3, 0
.LBB0_2:                                ; =>This Inner Loop Header: Depth=1
	s_load_b64 s[24:25], s[20:21], 0x0
                                        ; implicit-def: $vgpr40_vgpr41
	s_mov_b32 s2, exec_lo
	s_waitcnt lgkmcnt(0)
	v_or_b32_e32 v4, s25, v6
	s_delay_alu instid0(VALU_DEP_1)
	v_cmpx_ne_u64_e32 0, v[3:4]
	s_xor_b32 s3, exec_lo, s2
	s_cbranch_execz .LBB0_4
; %bb.3:                                ;   in Loop: Header=BB0_2 Depth=1
	v_cvt_f32_u32_e32 v4, s24
	v_cvt_f32_u32_e32 v7, s25
	s_sub_u32 s2, 0, s24
	s_subb_u32 s26, 0, s25
	s_delay_alu instid0(VALU_DEP_1) | instskip(NEXT) | instid1(VALU_DEP_1)
	v_fmac_f32_e32 v4, 0x4f800000, v7
	v_rcp_f32_e32 v4, v4
	s_waitcnt_depctr 0xfff
	v_mul_f32_e32 v4, 0x5f7ffffc, v4
	s_delay_alu instid0(VALU_DEP_1) | instskip(NEXT) | instid1(VALU_DEP_1)
	v_mul_f32_e32 v7, 0x2f800000, v4
	v_trunc_f32_e32 v7, v7
	s_delay_alu instid0(VALU_DEP_1) | instskip(SKIP_1) | instid1(VALU_DEP_2)
	v_fmac_f32_e32 v4, 0xcf800000, v7
	v_cvt_u32_f32_e32 v7, v7
	v_cvt_u32_f32_e32 v4, v4
	s_delay_alu instid0(VALU_DEP_2) | instskip(NEXT) | instid1(VALU_DEP_2)
	v_mul_lo_u32 v8, s2, v7
	v_mul_hi_u32 v9, s2, v4
	v_mul_lo_u32 v10, s26, v4
	s_delay_alu instid0(VALU_DEP_2) | instskip(SKIP_1) | instid1(VALU_DEP_2)
	v_add_nc_u32_e32 v8, v9, v8
	v_mul_lo_u32 v9, s2, v4
	v_add_nc_u32_e32 v8, v8, v10
	s_delay_alu instid0(VALU_DEP_2) | instskip(NEXT) | instid1(VALU_DEP_2)
	v_mul_hi_u32 v10, v4, v9
	v_mul_lo_u32 v11, v4, v8
	v_mul_hi_u32 v12, v4, v8
	v_mul_hi_u32 v13, v7, v9
	v_mul_lo_u32 v9, v7, v9
	v_mul_hi_u32 v14, v7, v8
	v_mul_lo_u32 v8, v7, v8
	v_add_co_u32 v10, vcc_lo, v10, v11
	v_add_co_ci_u32_e32 v11, vcc_lo, 0, v12, vcc_lo
	s_delay_alu instid0(VALU_DEP_2) | instskip(NEXT) | instid1(VALU_DEP_2)
	v_add_co_u32 v9, vcc_lo, v10, v9
	v_add_co_ci_u32_e32 v9, vcc_lo, v11, v13, vcc_lo
	v_add_co_ci_u32_e32 v10, vcc_lo, 0, v14, vcc_lo
	s_delay_alu instid0(VALU_DEP_2) | instskip(NEXT) | instid1(VALU_DEP_2)
	v_add_co_u32 v8, vcc_lo, v9, v8
	v_add_co_ci_u32_e32 v9, vcc_lo, 0, v10, vcc_lo
	s_delay_alu instid0(VALU_DEP_2) | instskip(NEXT) | instid1(VALU_DEP_2)
	v_add_co_u32 v4, vcc_lo, v4, v8
	v_add_co_ci_u32_e32 v7, vcc_lo, v7, v9, vcc_lo
	s_delay_alu instid0(VALU_DEP_2) | instskip(SKIP_1) | instid1(VALU_DEP_3)
	v_mul_hi_u32 v8, s2, v4
	v_mul_lo_u32 v10, s26, v4
	v_mul_lo_u32 v9, s2, v7
	s_delay_alu instid0(VALU_DEP_1) | instskip(SKIP_1) | instid1(VALU_DEP_2)
	v_add_nc_u32_e32 v8, v8, v9
	v_mul_lo_u32 v9, s2, v4
	v_add_nc_u32_e32 v8, v8, v10
	s_delay_alu instid0(VALU_DEP_2) | instskip(NEXT) | instid1(VALU_DEP_2)
	v_mul_hi_u32 v10, v4, v9
	v_mul_lo_u32 v11, v4, v8
	v_mul_hi_u32 v12, v4, v8
	v_mul_hi_u32 v13, v7, v9
	v_mul_lo_u32 v9, v7, v9
	v_mul_hi_u32 v14, v7, v8
	v_mul_lo_u32 v8, v7, v8
	v_add_co_u32 v10, vcc_lo, v10, v11
	v_add_co_ci_u32_e32 v11, vcc_lo, 0, v12, vcc_lo
	s_delay_alu instid0(VALU_DEP_2) | instskip(NEXT) | instid1(VALU_DEP_2)
	v_add_co_u32 v9, vcc_lo, v10, v9
	v_add_co_ci_u32_e32 v9, vcc_lo, v11, v13, vcc_lo
	v_add_co_ci_u32_e32 v10, vcc_lo, 0, v14, vcc_lo
	s_delay_alu instid0(VALU_DEP_2) | instskip(NEXT) | instid1(VALU_DEP_2)
	v_add_co_u32 v8, vcc_lo, v9, v8
	v_add_co_ci_u32_e32 v9, vcc_lo, 0, v10, vcc_lo
	s_delay_alu instid0(VALU_DEP_2) | instskip(NEXT) | instid1(VALU_DEP_2)
	v_add_co_u32 v4, vcc_lo, v4, v8
	v_add_co_ci_u32_e32 v13, vcc_lo, v7, v9, vcc_lo
	s_delay_alu instid0(VALU_DEP_2) | instskip(SKIP_1) | instid1(VALU_DEP_3)
	v_mul_hi_u32 v14, v5, v4
	v_mad_u64_u32 v[9:10], null, v6, v4, 0
	v_mad_u64_u32 v[7:8], null, v5, v13, 0
	;; [unrolled: 1-line block ×3, first 2 shown]
	s_delay_alu instid0(VALU_DEP_2) | instskip(NEXT) | instid1(VALU_DEP_3)
	v_add_co_u32 v4, vcc_lo, v14, v7
	v_add_co_ci_u32_e32 v7, vcc_lo, 0, v8, vcc_lo
	s_delay_alu instid0(VALU_DEP_2) | instskip(NEXT) | instid1(VALU_DEP_2)
	v_add_co_u32 v4, vcc_lo, v4, v9
	v_add_co_ci_u32_e32 v4, vcc_lo, v7, v10, vcc_lo
	v_add_co_ci_u32_e32 v7, vcc_lo, 0, v12, vcc_lo
	s_delay_alu instid0(VALU_DEP_2) | instskip(NEXT) | instid1(VALU_DEP_2)
	v_add_co_u32 v4, vcc_lo, v4, v11
	v_add_co_ci_u32_e32 v9, vcc_lo, 0, v7, vcc_lo
	s_delay_alu instid0(VALU_DEP_2) | instskip(SKIP_1) | instid1(VALU_DEP_3)
	v_mul_lo_u32 v10, s25, v4
	v_mad_u64_u32 v[7:8], null, s24, v4, 0
	v_mul_lo_u32 v11, s24, v9
	s_delay_alu instid0(VALU_DEP_2) | instskip(NEXT) | instid1(VALU_DEP_2)
	v_sub_co_u32 v7, vcc_lo, v5, v7
	v_add3_u32 v8, v8, v11, v10
	s_delay_alu instid0(VALU_DEP_1) | instskip(NEXT) | instid1(VALU_DEP_1)
	v_sub_nc_u32_e32 v10, v6, v8
	v_subrev_co_ci_u32_e64 v10, s2, s25, v10, vcc_lo
	v_add_co_u32 v11, s2, v4, 2
	s_delay_alu instid0(VALU_DEP_1) | instskip(SKIP_3) | instid1(VALU_DEP_3)
	v_add_co_ci_u32_e64 v12, s2, 0, v9, s2
	v_sub_co_u32 v13, s2, v7, s24
	v_sub_co_ci_u32_e32 v8, vcc_lo, v6, v8, vcc_lo
	v_subrev_co_ci_u32_e64 v10, s2, 0, v10, s2
	v_cmp_le_u32_e32 vcc_lo, s24, v13
	s_delay_alu instid0(VALU_DEP_3) | instskip(SKIP_1) | instid1(VALU_DEP_4)
	v_cmp_eq_u32_e64 s2, s25, v8
	v_cndmask_b32_e64 v13, 0, -1, vcc_lo
	v_cmp_le_u32_e32 vcc_lo, s25, v10
	v_cndmask_b32_e64 v14, 0, -1, vcc_lo
	v_cmp_le_u32_e32 vcc_lo, s24, v7
	;; [unrolled: 2-line block ×3, first 2 shown]
	v_cndmask_b32_e64 v15, 0, -1, vcc_lo
	v_cmp_eq_u32_e32 vcc_lo, s25, v10
	s_delay_alu instid0(VALU_DEP_2) | instskip(SKIP_3) | instid1(VALU_DEP_3)
	v_cndmask_b32_e64 v7, v15, v7, s2
	v_cndmask_b32_e32 v10, v14, v13, vcc_lo
	v_add_co_u32 v13, vcc_lo, v4, 1
	v_add_co_ci_u32_e32 v14, vcc_lo, 0, v9, vcc_lo
	v_cmp_ne_u32_e32 vcc_lo, 0, v10
	s_delay_alu instid0(VALU_DEP_2) | instskip(NEXT) | instid1(VALU_DEP_4)
	v_cndmask_b32_e32 v8, v14, v12, vcc_lo
	v_cndmask_b32_e32 v10, v13, v11, vcc_lo
	v_cmp_ne_u32_e32 vcc_lo, 0, v7
	s_delay_alu instid0(VALU_DEP_2)
	v_dual_cndmask_b32 v41, v9, v8 :: v_dual_cndmask_b32 v40, v4, v10
.LBB0_4:                                ;   in Loop: Header=BB0_2 Depth=1
	s_and_not1_saveexec_b32 s2, s3
	s_cbranch_execz .LBB0_6
; %bb.5:                                ;   in Loop: Header=BB0_2 Depth=1
	v_cvt_f32_u32_e32 v4, s24
	s_sub_i32 s3, 0, s24
	v_mov_b32_e32 v41, v3
	s_delay_alu instid0(VALU_DEP_2) | instskip(SKIP_2) | instid1(VALU_DEP_1)
	v_rcp_iflag_f32_e32 v4, v4
	s_waitcnt_depctr 0xfff
	v_mul_f32_e32 v4, 0x4f7ffffe, v4
	v_cvt_u32_f32_e32 v4, v4
	s_delay_alu instid0(VALU_DEP_1) | instskip(NEXT) | instid1(VALU_DEP_1)
	v_mul_lo_u32 v7, s3, v4
	v_mul_hi_u32 v7, v4, v7
	s_delay_alu instid0(VALU_DEP_1) | instskip(NEXT) | instid1(VALU_DEP_1)
	v_add_nc_u32_e32 v4, v4, v7
	v_mul_hi_u32 v4, v5, v4
	s_delay_alu instid0(VALU_DEP_1) | instskip(SKIP_1) | instid1(VALU_DEP_2)
	v_mul_lo_u32 v7, v4, s24
	v_add_nc_u32_e32 v8, 1, v4
	v_sub_nc_u32_e32 v7, v5, v7
	s_delay_alu instid0(VALU_DEP_1) | instskip(SKIP_1) | instid1(VALU_DEP_2)
	v_subrev_nc_u32_e32 v9, s24, v7
	v_cmp_le_u32_e32 vcc_lo, s24, v7
	v_dual_cndmask_b32 v7, v7, v9 :: v_dual_cndmask_b32 v4, v4, v8
	s_delay_alu instid0(VALU_DEP_1) | instskip(NEXT) | instid1(VALU_DEP_2)
	v_cmp_le_u32_e32 vcc_lo, s24, v7
	v_add_nc_u32_e32 v8, 1, v4
	s_delay_alu instid0(VALU_DEP_1)
	v_cndmask_b32_e32 v40, v4, v8, vcc_lo
.LBB0_6:                                ;   in Loop: Header=BB0_2 Depth=1
	s_or_b32 exec_lo, exec_lo, s2
	s_delay_alu instid0(VALU_DEP_1) | instskip(NEXT) | instid1(VALU_DEP_2)
	v_mul_lo_u32 v4, v41, s24
	v_mul_lo_u32 v9, v40, s25
	s_load_b64 s[2:3], s[14:15], 0x0
	v_mad_u64_u32 v[7:8], null, v40, s24, 0
	s_load_b64 s[24:25], s[12:13], 0x0
	s_add_u32 s22, s22, 1
	s_addc_u32 s23, s23, 0
	s_add_u32 s12, s12, 8
	s_addc_u32 s13, s13, 0
	s_add_u32 s14, s14, 8
	s_delay_alu instid0(VALU_DEP_1) | instskip(SKIP_3) | instid1(VALU_DEP_2)
	v_add3_u32 v4, v8, v9, v4
	v_sub_co_u32 v8, vcc_lo, v5, v7
	s_addc_u32 s15, s15, 0
	s_add_u32 s20, s20, 8
	v_sub_co_ci_u32_e32 v6, vcc_lo, v6, v4, vcc_lo
	s_addc_u32 s21, s21, 0
	s_waitcnt lgkmcnt(0)
	s_delay_alu instid0(VALU_DEP_1)
	v_mul_lo_u32 v9, s2, v6
	v_mul_lo_u32 v10, s3, v8
	v_mad_u64_u32 v[4:5], null, s2, v8, v[1:2]
	v_mul_lo_u32 v11, s24, v6
	v_mul_lo_u32 v12, s25, v8
	v_mad_u64_u32 v[6:7], null, s24, v8, v[36:37]
	v_cmp_ge_u64_e64 s2, s[22:23], s[10:11]
	v_add3_u32 v2, v10, v5, v9
	s_delay_alu instid0(VALU_DEP_3) | instskip(NEXT) | instid1(VALU_DEP_4)
	v_dual_mov_b32 v1, v4 :: v_dual_mov_b32 v36, v6
	v_add3_u32 v37, v12, v7, v11
	s_delay_alu instid0(VALU_DEP_4)
	s_and_b32 vcc_lo, exec_lo, s2
	s_cbranch_vccnz .LBB0_9
; %bb.7:                                ;   in Loop: Header=BB0_2 Depth=1
	v_dual_mov_b32 v5, v40 :: v_dual_mov_b32 v6, v41
	s_branch .LBB0_2
.LBB0_8:
	v_dual_mov_b32 v37, v2 :: v_dual_mov_b32 v36, v1
	v_dual_mov_b32 v41, v6 :: v_dual_mov_b32 v40, v5
.LBB0_9:
	s_load_b64 s[0:1], s[0:1], 0x28
	v_mul_hi_u32 v3, 0x5555556, v0
	s_lshl_b64 s[10:11], s[10:11], 3
                                        ; implicit-def: $vgpr38
                                        ; implicit-def: $vgpr43
                                        ; implicit-def: $vgpr42
	s_delay_alu instid0(SALU_CYCLE_1) | instskip(SKIP_4) | instid1(VALU_DEP_1)
	s_add_u32 s2, s18, s10
	s_addc_u32 s3, s19, s11
	s_waitcnt lgkmcnt(0)
	v_cmp_gt_u64_e32 vcc_lo, s[0:1], v[40:41]
	v_cmp_le_u64_e64 s0, s[0:1], v[40:41]
	s_and_saveexec_b32 s1, s0
	s_delay_alu instid0(SALU_CYCLE_1)
	s_xor_b32 s0, exec_lo, s1
; %bb.10:
	v_mul_u32_u24_e32 v1, 48, v3
                                        ; implicit-def: $vgpr3
	s_delay_alu instid0(VALU_DEP_1) | instskip(NEXT) | instid1(VALU_DEP_1)
	v_sub_nc_u32_e32 v38, v0, v1
                                        ; implicit-def: $vgpr0
                                        ; implicit-def: $vgpr1_vgpr2
	v_add_nc_u32_e32 v43, 48, v38
	v_add_nc_u32_e32 v42, 0x60, v38
; %bb.11:
	s_and_not1_saveexec_b32 s1, s0
	s_cbranch_execz .LBB0_13
; %bb.12:
	s_add_u32 s10, s16, s10
	s_addc_u32 s11, s17, s11
	v_lshlrev_b64 v[1:2], 3, v[1:2]
	s_load_b64 s[10:11], s[10:11], 0x0
	s_waitcnt lgkmcnt(0)
	v_mul_lo_u32 v6, s11, v40
	v_mul_lo_u32 v7, s10, v41
	v_mad_u64_u32 v[4:5], null, s10, v40, 0
	s_delay_alu instid0(VALU_DEP_1) | instskip(SKIP_1) | instid1(VALU_DEP_2)
	v_add3_u32 v5, v5, v7, v6
	v_mul_u32_u24_e32 v6, 48, v3
	v_lshlrev_b64 v[3:4], 3, v[4:5]
	s_delay_alu instid0(VALU_DEP_2) | instskip(NEXT) | instid1(VALU_DEP_1)
	v_sub_nc_u32_e32 v38, v0, v6
	v_lshlrev_b32_e32 v22, 3, v38
	s_delay_alu instid0(VALU_DEP_3) | instskip(NEXT) | instid1(VALU_DEP_1)
	v_add_co_u32 v0, s0, s4, v3
	v_add_co_ci_u32_e64 v3, s0, s5, v4, s0
	v_add_nc_u32_e32 v43, 48, v38
	s_delay_alu instid0(VALU_DEP_3) | instskip(NEXT) | instid1(VALU_DEP_1)
	v_add_co_u32 v0, s0, v0, v1
	v_add_co_ci_u32_e64 v1, s0, v3, v2, s0
	v_add_nc_u32_e32 v42, 0x60, v38
	s_delay_alu instid0(VALU_DEP_3) | instskip(NEXT) | instid1(VALU_DEP_1)
	v_add_co_u32 v0, s0, v0, v22
	v_add_co_ci_u32_e64 v1, s0, 0, v1, s0
	s_clause 0xa
	global_load_b64 v[2:3], v[0:1], off
	global_load_b64 v[4:5], v[0:1], off offset:384
	global_load_b64 v[6:7], v[0:1], off offset:768
	;; [unrolled: 1-line block ×10, first 2 shown]
	v_add_nc_u32_e32 v22, 0, v22
	s_delay_alu instid0(VALU_DEP_1)
	v_add_nc_u32_e32 v23, 0x800, v22
	s_waitcnt vmcnt(9)
	ds_store_2addr_b64 v22, v[2:3], v[4:5] offset1:48
	s_waitcnt vmcnt(7)
	ds_store_2addr_b64 v22, v[6:7], v[8:9] offset0:96 offset1:144
	s_waitcnt vmcnt(5)
	ds_store_2addr_b64 v22, v[10:11], v[12:13] offset0:192 offset1:240
	;; [unrolled: 2-line block ×4, first 2 shown]
	s_waitcnt vmcnt(0)
	ds_store_b64 v22, v[0:1] offset:3840
.LBB0_13:
	s_or_b32 exec_lo, exec_lo, s1
	v_lshl_add_u32 v50, v38, 3, 0
	s_load_b64 s[2:3], s[2:3], 0x0
	s_waitcnt lgkmcnt(0)
	s_barrier
	buffer_gl0_inv
	v_add_nc_u32_e32 v4, 0x800, v50
	v_cmp_gt_u32_e64 s0, 36, v38
	ds_load_2addr_b64 v[0:3], v50 offset1:48
	ds_load_2addr_b64 v[5:8], v4 offset0:8 offset1:56
	ds_load_2addr_b64 v[9:12], v50 offset0:96 offset1:132
	;; [unrolled: 1-line block ×5, first 2 shown]
	s_waitcnt lgkmcnt(0)
	s_barrier
	buffer_gl0_inv
	v_dual_sub_f32 v25, v0, v5 :: v_dual_sub_f32 v26, v1, v6
	v_dual_sub_f32 v5, v11, v15 :: v_dual_sub_f32 v6, v12, v16
	;; [unrolled: 1-line block ×5, first 2 shown]
	v_sub_f32_e32 v13, v19, v23
	v_fma_f32 v8, v11, 2.0, -v5
	v_fma_f32 v11, v12, 2.0, -v6
	;; [unrolled: 1-line block ×4, first 2 shown]
	v_sub_f32_e32 v14, v20, v24
	v_fma_f32 v21, v0, 2.0, -v25
	v_fma_f32 v22, v1, 2.0, -v26
	v_dual_sub_f32 v1, v26, v5 :: v_dual_add_f32 v0, v25, v6
	v_fma_f32 v3, v3, 2.0, -v28
	v_fma_f32 v18, v18, 2.0, -v7
	;; [unrolled: 1-line block ×3, first 2 shown]
	v_dual_sub_f32 v9, v12, v17 :: v_dual_add_f32 v2, v15, v7
	v_sub_f32_e32 v5, v21, v8
	v_fma_f32 v24, v10, 2.0, -v30
	v_sub_f32_e32 v6, v22, v11
	v_fma_f32 v7, v25, 2.0, -v0
	v_fma_f32 v25, v12, 2.0, -v9
	;; [unrolled: 1-line block ×4, first 2 shown]
	v_sub_f32_e32 v10, v3, v18
	v_fma_f32 v8, v26, 2.0, -v1
	v_fma_f32 v27, v15, 2.0, -v2
	s_delay_alu instid0(VALU_DEP_4) | instskip(NEXT) | instid1(VALU_DEP_4)
	v_dual_add_f32 v14, v29, v14 :: v_dual_sub_f32 v17, v24, v12
	v_fma_f32 v26, v3, 2.0, -v10
	v_dual_sub_f32 v3, v28, v16 :: v_dual_sub_f32 v16, v23, v11
	v_sub_f32_e32 v15, v30, v13
	v_fma_f32 v21, v21, 2.0, -v5
	v_fma_f32 v22, v22, 2.0, -v6
	;; [unrolled: 1-line block ×6, first 2 shown]
	v_mad_u32_u24 v11, v38, 24, v50
	v_lshl_add_u32 v24, v43, 5, 0
	v_fma_f32 v28, v28, 2.0, -v3
	ds_store_2addr_b64 v11, v[21:22], v[7:8] offset1:1
	ds_store_2addr_b64 v11, v[5:6], v[0:1] offset0:2 offset1:3
	ds_store_2addr_b64 v24, v[25:26], v[27:28] offset1:1
	ds_store_2addr_b64 v24, v[9:10], v[2:3] offset0:2 offset1:3
	s_and_saveexec_b32 s1, s0
	s_cbranch_execz .LBB0_15
; %bb.14:
	v_lshl_add_u32 v0, v42, 5, 0
	ds_store_2addr_b64 v0, v[12:13], v[18:19] offset1:1
	ds_store_2addr_b64 v0, v[16:17], v[14:15] offset0:2 offset1:3
.LBB0_15:
	s_or_b32 exec_lo, exec_lo, s1
	v_add_nc_u32_e32 v25, 0x400, v50
	v_mad_i32_i24 v20, 0xffffffe8, v43, v24
	s_waitcnt lgkmcnt(0)
	s_barrier
	buffer_gl0_inv
	ds_load_2addr_b64 v[0:3], v50 offset1:132
	ds_load_2addr_b64 v[8:11], v25 offset0:52 offset1:136
	ds_load_2addr_b64 v[4:7], v4 offset0:56 offset1:140
	ds_load_b64 v[20:21], v20
	ds_load_b64 v[22:23], v50 offset:3552
	v_lshlrev_b32_e32 v26, 2, v43
	v_lshl_add_u32 v51, v42, 3, 0
	s_and_saveexec_b32 s1, s0
	s_cbranch_execz .LBB0_17
; %bb.16:
	ds_load_2addr_b64 v[27:30], v25 offset0:100 offset1:232
	ds_load_b64 v[12:13], v51
	ds_load_b64 v[14:15], v50 offset:3936
	s_waitcnt lgkmcnt(2)
	v_dual_mov_b32 v17, v30 :: v_dual_mov_b32 v16, v29
	v_dual_mov_b32 v19, v28 :: v_dual_mov_b32 v18, v27
.LBB0_17:
	s_or_b32 exec_lo, exec_lo, s1
	v_and_b32_e32 v25, 3, v38
	s_delay_alu instid0(VALU_DEP_1) | instskip(NEXT) | instid1(VALU_DEP_1)
	v_mul_u32_u24_e32 v27, 3, v25
	v_lshlrev_b32_e32 v31, 3, v27
	s_clause 0x1
	global_load_b128 v[27:30], v31, s[8:9]
	global_load_b64 v[31:32], v31, s[8:9] offset:16
	v_lshlrev_b32_e32 v33, 2, v38
	s_waitcnt vmcnt(0) lgkmcnt(0)
	s_barrier
	buffer_gl0_inv
	v_dual_mul_f32 v35, v28, v3 :: v_dual_mul_f32 v52, v30, v5
	v_dual_mul_f32 v39, v28, v2 :: v_dual_mul_f32 v56, v19, v28
	;; [unrolled: 1-line block ×3, first 2 shown]
	v_mul_f32_e32 v46, v32, v7
	v_dual_mul_f32 v47, v32, v6 :: v_dual_mul_f32 v44, v30, v11
	v_mul_f32_e32 v48, v28, v9
	v_mul_f32_e32 v49, v28, v8
	;; [unrolled: 1-line block ×3, first 2 shown]
	v_dual_mul_f32 v55, v32, v22 :: v_dual_mul_f32 v58, v15, v32
	v_dual_mul_f32 v28, v18, v28 :: v_dual_mul_f32 v57, v17, v30
	v_mul_f32_e32 v32, v14, v32
	v_mul_f32_e32 v30, v16, v30
	v_dual_fmac_f32 v35, v27, v2 :: v_dual_fmac_f32 v52, v29, v4
	v_fma_f32 v2, v27, v3, -v39
	v_fma_f32 v3, v29, v11, -v45
	v_dual_fmac_f32 v46, v31, v6 :: v_dual_fmac_f32 v57, v16, v29
	v_fma_f32 v6, v31, v7, -v47
	v_fmac_f32_e32 v44, v29, v10
	s_delay_alu instid0(VALU_DEP_4)
	v_dual_fmac_f32 v48, v27, v8 :: v_dual_sub_f32 v3, v1, v3
	v_fma_f32 v8, v27, v9, -v49
	v_fma_f32 v4, v29, v5, -v53
	;; [unrolled: 1-line block ×6, first 2 shown]
	v_sub_f32_e32 v6, v2, v6
	v_dual_fmac_f32 v54, v31, v22 :: v_dual_sub_f32 v17, v21, v4
	v_dual_fmac_f32 v56, v18, v27 :: v_dual_sub_f32 v11, v35, v46
	;; [unrolled: 1-line block ×3, first 2 shown]
	v_dual_sub_f32 v27, v12, v57 :: v_dual_sub_f32 v28, v13, v7
	v_sub_f32_e32 v18, v10, v9
	v_fma_f32 v1, v1, 2.0, -v3
	v_fma_f32 v2, v2, 2.0, -v6
	v_sub_f32_e32 v16, v20, v52
	v_dual_sub_f32 v14, v0, v44 :: v_dual_sub_f32 v7, v3, v11
	v_sub_f32_e32 v15, v56, v58
	v_fma_f32 v19, v35, 2.0, -v11
	v_fma_f32 v23, v21, 2.0, -v17
	;; [unrolled: 1-line block ×4, first 2 shown]
	v_dual_sub_f32 v11, v1, v2 :: v_dual_add_f32 v8, v16, v5
	v_fma_f32 v5, v13, 2.0, -v28
	v_sub_f32_e32 v4, v48, v54
	v_fma_f32 v0, v0, 2.0, -v14
	v_dual_add_f32 v6, v14, v6 :: v_dual_sub_f32 v21, v28, v15
	v_fma_f32 v22, v20, 2.0, -v16
	v_fma_f32 v13, v3, 2.0, -v7
	v_sub_f32_e32 v3, v5, v32
	v_fma_f32 v29, v48, 2.0, -v4
	v_and_or_b32 v33, 0xf0, v33, v25
	v_sub_f32_e32 v9, v17, v4
	v_fma_f32 v4, v12, 2.0, -v27
	v_fma_f32 v31, v56, 2.0, -v15
	v_add_f32_e32 v20, v27, v18
	v_sub_f32_e32 v10, v0, v19
	v_and_or_b32 v34, 0x1f0, v26, v25
	v_fma_f32 v12, v14, 2.0, -v6
	v_dual_sub_f32 v14, v22, v29 :: v_dual_sub_f32 v15, v23, v30
	v_mul_i32_i24_e32 v26, 0xffffffe8, v43
	v_lshl_add_u32 v33, v33, 3, 0
	v_sub_f32_e32 v2, v4, v31
	v_fma_f32 v18, v0, 2.0, -v10
	v_fma_f32 v19, v1, 2.0, -v11
	;; [unrolled: 1-line block ×4, first 2 shown]
	v_lshl_add_u32 v34, v34, 3, 0
	v_fma_f32 v16, v16, 2.0, -v8
	v_fma_f32 v17, v17, 2.0, -v9
	;; [unrolled: 1-line block ×4, first 2 shown]
	ds_store_2addr_b64 v33, v[10:11], v[6:7] offset0:8 offset1:12
	ds_store_2addr_b64 v33, v[18:19], v[12:13] offset1:4
	ds_store_2addr_b64 v34, v[22:23], v[16:17] offset1:4
	ds_store_2addr_b64 v34, v[14:15], v[8:9] offset0:8 offset1:12
	s_and_saveexec_b32 s1, s0
	s_cbranch_execz .LBB0_19
; %bb.18:
	v_lshlrev_b32_e32 v6, 2, v42
	v_fma_f32 v5, v5, 2.0, -v3
	v_fma_f32 v4, v4, 2.0, -v2
	s_delay_alu instid0(VALU_DEP_3) | instskip(NEXT) | instid1(VALU_DEP_1)
	v_and_or_b32 v6, 0x3f0, v6, v25
	v_lshl_add_u32 v6, v6, 3, 0
	ds_store_2addr_b64 v6, v[4:5], v[0:1] offset1:4
	ds_store_2addr_b64 v6, v[2:3], v[20:21] offset0:8 offset1:12
.LBB0_19:
	s_or_b32 exec_lo, exec_lo, s1
	v_add_nc_u32_e32 v5, 0x800, v50
	v_add_nc_u32_e32 v4, 0x400, v50
	;; [unrolled: 1-line block ×3, first 2 shown]
	s_waitcnt lgkmcnt(0)
	s_barrier
	buffer_gl0_inv
	ds_load_2addr_b64 v[8:11], v50 offset1:176
	ds_load_2addr_b64 v[16:19], v5 offset0:96 offset1:144
	ds_load_2addr_b64 v[12:15], v4 offset0:96 offset1:144
	ds_load_b64 v[22:23], v51
	ds_load_b64 v[24:25], v52
	ds_load_b64 v[26:27], v50 offset:3584
	v_cmp_gt_u32_e64 s0, 32, v38
	s_delay_alu instid0(VALU_DEP_1)
	s_and_saveexec_b32 s1, s0
	s_cbranch_execz .LBB0_21
; %bb.20:
	ds_load_2addr_b64 v[0:3], v4 offset0:16 offset1:192
	ds_load_b64 v[20:21], v50 offset:3968
.LBB0_21:
	s_or_b32 exec_lo, exec_lo, s1
	v_and_b32_e32 v28, 15, v38
	v_lshrrev_b32_e32 v29, 4, v43
	v_lshrrev_b32_e32 v31, 4, v38
	;; [unrolled: 1-line block ×3, first 2 shown]
	s_delay_alu instid0(VALU_DEP_4) | instskip(NEXT) | instid1(VALU_DEP_4)
	v_lshlrev_b32_e32 v4, 4, v28
	v_mul_lo_u32 v29, v29, 48
	s_delay_alu instid0(VALU_DEP_4) | instskip(NEXT) | instid1(VALU_DEP_4)
	v_mul_u32_u24_e32 v31, 48, v31
	v_mul_lo_u32 v30, v30, 48
	global_load_b128 v[4:7], v4, s[8:9] offset:96
	s_waitcnt vmcnt(0) lgkmcnt(0)
	s_barrier
	buffer_gl0_inv
	v_mul_f32_e32 v33, v5, v10
	v_dual_mul_f32 v32, v5, v11 :: v_dual_mul_f32 v53, v7, v26
	v_mul_f32_e32 v35, v7, v16
	v_dual_mul_f32 v34, v7, v17 :: v_dual_mul_f32 v47, v5, v15
	v_dual_mul_f32 v39, v5, v13 :: v_dual_mul_f32 v46, v7, v18
	;; [unrolled: 1-line block ×3, first 2 shown]
	v_fmac_f32_e32 v32, v4, v10
	v_fma_f32 v10, v4, v11, -v33
	v_dual_mul_f32 v48, v5, v14 :: v_dual_mul_f32 v49, v7, v27
	v_fma_f32 v11, v6, v17, -v35
	v_dual_fmac_f32 v34, v6, v16 :: v_dual_fmac_f32 v47, v4, v14
	v_fmac_f32_e32 v39, v4, v12
	v_fma_f32 v12, v4, v13, -v44
	v_fma_f32 v13, v6, v19, -v46
	v_add_f32_e32 v19, v10, v9
	v_dual_fmac_f32 v45, v6, v18 :: v_dual_add_f32 v16, v32, v8
	v_fma_f32 v14, v4, v15, -v48
	v_fma_f32 v15, v6, v27, -v53
	v_sub_f32_e32 v18, v10, v11
	v_fmac_f32_e32 v49, v6, v26
	v_dual_add_f32 v17, v32, v34 :: v_dual_add_f32 v26, v10, v11
	v_dual_add_f32 v33, v39, v45 :: v_dual_add_f32 v48, v22, v47
	;; [unrolled: 1-line block ×3, first 2 shown]
	v_dual_sub_f32 v27, v32, v34 :: v_dual_add_f32 v44, v25, v12
	v_dual_add_f32 v32, v24, v39 :: v_dual_sub_f32 v39, v39, v45
	v_dual_add_f32 v56, v14, v15 :: v_dual_add_f32 v53, v47, v49
	v_add_f32_e32 v10, v16, v34
	v_or_b32_e32 v31, v31, v28
	v_fma_f32 v8, -0.5, v17, v8
	v_fma_f32 v9, -0.5, v26, v9
	v_or_b32_e32 v29, v29, v28
	v_dual_sub_f32 v35, v12, v13 :: v_dual_sub_f32 v54, v14, v15
	v_fma_f32 v24, -0.5, v33, v24
	v_dual_fmac_f32 v25, -0.5, v46 :: v_dual_add_f32 v14, v48, v49
	v_or_b32_e32 v30, v30, v28
	v_dual_sub_f32 v47, v47, v49 :: v_dual_fmamk_f32 v16, v18, 0xbf5db3d7, v8
	v_fma_f32 v22, -0.5, v53, v22
	v_fmac_f32_e32 v23, -0.5, v56
	v_lshl_add_u32 v31, v31, 3, 0
	v_dual_add_f32 v11, v19, v11 :: v_dual_add_f32 v12, v32, v45
	v_fmamk_f32 v17, v27, 0x3f5db3d7, v9
	v_dual_add_f32 v13, v44, v13 :: v_dual_fmac_f32 v8, 0x3f5db3d7, v18
	v_fmac_f32_e32 v9, 0xbf5db3d7, v27
	v_lshl_add_u32 v29, v29, 3, 0
	v_fmamk_f32 v18, v35, 0xbf5db3d7, v24
	v_dual_fmamk_f32 v19, v39, 0x3f5db3d7, v25 :: v_dual_fmac_f32 v24, 0x3f5db3d7, v35
	v_fmac_f32_e32 v25, 0xbf5db3d7, v39
	v_lshl_add_u32 v30, v30, 3, 0
	v_dual_add_f32 v15, v55, v15 :: v_dual_fmamk_f32 v26, v54, 0xbf5db3d7, v22
	v_dual_fmamk_f32 v27, v47, 0x3f5db3d7, v23 :: v_dual_fmac_f32 v22, 0x3f5db3d7, v54
	v_fmac_f32_e32 v23, 0xbf5db3d7, v47
	ds_store_2addr_b64 v31, v[10:11], v[16:17] offset1:16
	ds_store_b64 v31, v[8:9] offset:256
	ds_store_2addr_b64 v29, v[12:13], v[18:19] offset1:16
	ds_store_b64 v29, v[24:25] offset:256
	;; [unrolled: 2-line block ×3, first 2 shown]
	s_and_saveexec_b32 s1, s0
	s_cbranch_execz .LBB0_23
; %bb.22:
	v_dual_mul_f32 v8, v3, v5 :: v_dual_mul_f32 v9, v20, v7
	v_dual_mul_f32 v5, v2, v5 :: v_dual_add_nc_u32 v10, 0x90, v38
	s_delay_alu instid0(VALU_DEP_2) | instskip(NEXT) | instid1(VALU_DEP_2)
	v_dual_mul_f32 v7, v21, v7 :: v_dual_fmac_f32 v8, v2, v4
	v_fma_f32 v4, v3, v4, -v5
	s_delay_alu instid0(VALU_DEP_4) | instskip(NEXT) | instid1(VALU_DEP_3)
	v_fma_f32 v5, v21, v6, -v9
	v_fmac_f32_e32 v7, v20, v6
	v_lshrrev_b32_e32 v2, 4, v10
	s_delay_alu instid0(VALU_DEP_3) | instskip(SKIP_1) | instid1(VALU_DEP_4)
	v_sub_f32_e32 v10, v4, v5
	v_dual_add_f32 v3, v4, v5 :: v_dual_add_f32 v4, v1, v4
	v_sub_f32_e32 v9, v8, v7
	v_add_f32_e32 v6, v8, v7
	v_mul_u32_u24_e32 v11, 48, v2
	s_delay_alu instid0(VALU_DEP_2) | instskip(SKIP_1) | instid1(VALU_DEP_3)
	v_fma_f32 v2, -0.5, v6, v0
	v_add_f32_e32 v6, v0, v8
	v_or_b32_e32 v8, v11, v28
	s_delay_alu instid0(VALU_DEP_3) | instskip(SKIP_1) | instid1(VALU_DEP_1)
	v_fmamk_f32 v0, v10, 0xbf5db3d7, v2
	v_fma_f32 v3, -0.5, v3, v1
	v_dual_fmac_f32 v2, 0x3f5db3d7, v10 :: v_dual_fmamk_f32 v1, v9, 0x3f5db3d7, v3
	v_fmac_f32_e32 v3, 0xbf5db3d7, v9
	v_dual_add_f32 v5, v4, v5 :: v_dual_add_f32 v4, v6, v7
	v_lshl_add_u32 v6, v8, 3, 0
	ds_store_2addr_b64 v6, v[4:5], v[0:1] offset1:16
	ds_store_b64 v6, v[2:3] offset:256
.LBB0_23:
	s_or_b32 exec_lo, exec_lo, s1
	v_mul_u32_u24_e32 v0, 10, v38
	s_waitcnt lgkmcnt(0)
	s_barrier
	buffer_gl0_inv
	s_add_u32 s1, s8, 0x1060
	v_lshlrev_b32_e32 v0, 3, v0
	s_addc_u32 s4, s9, 0
	s_mov_b32 s5, exec_lo
	s_clause 0x4
	global_load_b128 v[16:19], v0, s[8:9] offset:352
	global_load_b128 v[12:15], v0, s[8:9] offset:368
	;; [unrolled: 1-line block ×5, first 2 shown]
	ds_load_b64 v[48:49], v52
	ds_load_b64 v[46:47], v51
	ds_load_2addr_b64 v[0:3], v50 offset1:144
	s_waitcnt vmcnt(4) lgkmcnt(1)
	v_dual_mul_f32 v54, v19, v47 :: v_dual_add_nc_u32 v39, 0x800, v50
	ds_load_2addr_b64 v[32:35], v50 offset0:192 offset1:240
	ds_load_2addr_b64 v[28:31], v39 offset0:32 offset1:80
	ds_load_2addr_b64 v[24:27], v39 offset0:128 offset1:176
	ds_load_b64 v[44:45], v50 offset:3840
	v_mul_f32_e32 v53, v17, v49
	v_mul_f32_e32 v17, v17, v48
	;; [unrolled: 1-line block ×3, first 2 shown]
	s_waitcnt vmcnt(3) lgkmcnt(4)
	v_dual_mul_f32 v55, v13, v3 :: v_dual_fmac_f32 v54, v18, v46
	s_waitcnt vmcnt(0) lgkmcnt(0)
	s_barrier
	buffer_gl0_inv
	v_dual_mul_f32 v56, v15, v33 :: v_dual_mul_f32 v13, v13, v2
	v_dual_mul_f32 v15, v15, v32 :: v_dual_mul_f32 v60, v25, v7
	;; [unrolled: 1-line block ×4, first 2 shown]
	s_delay_alu instid0(VALU_DEP_3) | instskip(NEXT) | instid1(VALU_DEP_3)
	v_dual_fmac_f32 v60, v24, v6 :: v_dual_mul_f32 v57, v9, v35
	v_dual_fmac_f32 v58, v28, v10 :: v_dual_mul_f32 v61, v27, v21
	s_delay_alu instid0(VALU_DEP_3)
	v_fmac_f32_e32 v62, v44, v22
	v_fmac_f32_e32 v56, v14, v32
	;; [unrolled: 1-line block ×3, first 2 shown]
	v_fma_f32 v4, v31, v4, -v5
	v_fmac_f32_e32 v55, v12, v2
	v_fma_f32 v2, v12, v3, -v13
	v_fmac_f32_e32 v53, v16, v48
	v_mul_f32_e32 v7, v24, v7
	v_fma_f32 v3, v14, v33, -v15
	v_fmac_f32_e32 v61, v26, v20
	v_fma_f32 v16, v16, v49, -v17
	v_fma_f32 v17, v18, v47, -v19
	;; [unrolled: 1-line block ×3, first 2 shown]
	s_delay_alu instid0(VALU_DEP_1) | instskip(SKIP_3) | instid1(VALU_DEP_3)
	v_sub_f32_e32 v24, v2, v5
	v_dual_mul_f32 v21, v26, v21 :: v_dual_sub_f32 v12, v53, v62
	v_dual_sub_f32 v26, v3, v4 :: v_dual_fmac_f32 v57, v8, v34
	v_dual_mul_f32 v11, v28, v11 :: v_dual_add_f32 v6, v53, v0
	v_fma_f32 v18, v27, v20, -v21
	v_add_f32_e32 v20, v55, v60
	s_delay_alu instid0(VALU_DEP_4)
	v_add_f32_e32 v30, v57, v58
	v_sub_f32_e32 v28, v56, v59
	v_mul_f32_e32 v23, v44, v23
	v_dual_mul_f32 v9, v9, v34 :: v_dual_add_f32 v14, v54, v61
	v_sub_f32_e32 v19, v17, v18
	v_dual_add_f32 v7, v16, v1 :: v_dual_sub_f32 v32, v57, v58
	s_delay_alu instid0(VALU_DEP_4) | instskip(NEXT) | instid1(VALU_DEP_4)
	v_fma_f32 v22, v45, v22, -v23
	v_fma_f32 v8, v8, v35, -v9
	;; [unrolled: 1-line block ×3, first 2 shown]
	v_dual_mul_f32 v48, 0xbf68dda4, v19 :: v_dual_sub_f32 v23, v55, v60
	v_add_f32_e32 v6, v6, v54
	v_sub_f32_e32 v13, v16, v22
	v_add_f32_e32 v11, v16, v22
	v_dual_add_f32 v15, v17, v18 :: v_dual_sub_f32 v16, v54, v61
	v_dual_add_f32 v7, v7, v17 :: v_dual_mul_f32 v76, 0x3f7d64f0, v26
	s_delay_alu instid0(VALU_DEP_4) | instskip(NEXT) | instid1(VALU_DEP_3)
	v_mul_f32_e32 v44, 0xbf7d64f0, v13
	v_dual_add_f32 v21, v2, v5 :: v_dual_mul_f32 v54, 0xbf27a4f4, v15
	v_dual_sub_f32 v29, v8, v9 :: v_dual_mul_f32 v66, 0xbe11bafb, v15
	v_mul_f32_e32 v34, 0xbf68dda4, v13
	s_delay_alu instid0(VALU_DEP_3)
	v_dual_mul_f32 v33, 0x3f575c64, v11 :: v_dual_mul_f32 v74, 0x3f575c64, v21
	v_dual_add_f32 v10, v53, v62 :: v_dual_add_f32 v27, v3, v4
	v_dual_mul_f32 v64, 0xbf75a155, v15 :: v_dual_add_f32 v31, v8, v9
	v_dual_mul_f32 v17, 0xbf0a6770, v13 :: v_dual_add_f32 v6, v6, v55
	v_dual_mul_f32 v35, 0x3ed4b147, v11 :: v_dual_mul_f32 v72, 0x3ed4b147, v21
	v_dual_mul_f32 v45, 0xbe11bafb, v11 :: v_dual_add_f32 v2, v7, v2
	v_dual_mul_f32 v46, 0xbf4178ce, v13 :: v_dual_mul_f32 v53, 0xbf4178ce, v19
	s_delay_alu instid0(VALU_DEP_2)
	v_dual_mul_f32 v65, 0x3f7d64f0, v19 :: v_dual_fmamk_f32 v94, v12, 0x3f7d64f0, v45
	v_mul_f32_e32 v70, 0xbf75a155, v21
	v_dual_mul_f32 v84, 0x3f0a6770, v29 :: v_dual_fmamk_f32 v55, v12, 0x3f0a6770, v33
	v_fmamk_f32 v112, v23, 0x3f0a6770, v74
	v_mul_f32_e32 v47, 0xbf27a4f4, v11
	v_mul_f32_e32 v11, 0xbf75a155, v11
	v_mul_f32_e32 v63, 0x3e903f40, v19
	v_mul_f32_e32 v19, 0x3f0a6770, v19
	v_dual_add_f32 v25, v56, v59 :: v_dual_mul_f32 v68, 0xbe11bafb, v21
	v_dual_mul_f32 v13, 0xbe903f40, v13 :: v_dual_mul_f32 v78, 0xbe903f40, v26
	v_mul_f32_e32 v49, 0x3ed4b147, v15
	v_dual_mul_f32 v15, 0x3f575c64, v15 :: v_dual_fmamk_f32 v122, v30, 0x3f575c64, v84
	v_dual_mul_f32 v67, 0xbf7d64f0, v24 :: v_dual_fmamk_f32 v104, v16, 0xbf7d64f0, v66
	v_mul_f32_e32 v69, 0x3e903f40, v24
	v_mul_f32_e32 v71, 0x3f68dda4, v24
	s_delay_alu instid0(VALU_DEP_4)
	v_dual_mul_f32 v73, 0xbf0a6770, v24 :: v_dual_fmamk_f32 v106, v16, 0xbf0a6770, v15
	v_mul_f32_e32 v24, 0xbf4178ce, v24
	v_dual_mul_f32 v80, 0xbe11bafb, v27 :: v_dual_fmamk_f32 v93, v10, 0xbe11bafb, v44
	v_dual_mul_f32 v82, 0xbf75a155, v27 :: v_dual_fmamk_f32 v97, v10, 0xbf75a155, v13
	;; [unrolled: 1-line block ×3, first 2 shown]
	v_fma_f32 v17, 0x3f575c64, v10, -v17
	s_delay_alu instid0(VALU_DEP_4)
	v_dual_fmac_f32 v45, 0xbf7d64f0, v12 :: v_dual_fmamk_f32 v118, v28, 0xbf7d64f0, v80
	v_fmamk_f32 v95, v10, 0xbf27a4f4, v46
	v_fma_f32 v46, 0xbf27a4f4, v10, -v46
	v_mul_f32_e32 v75, 0xbf4178ce, v26
	v_dual_mul_f32 v77, 0xbf0a6770, v26 :: v_dual_fmac_f32 v74, 0xbf0a6770, v23
	v_mul_f32_e32 v26, 0x3f68dda4, v26
	v_mul_f32_e32 v81, 0x3f575c64, v27
	v_dual_mul_f32 v83, 0xbe903f40, v29 :: v_dual_fmamk_f32 v102, v16, 0xbe903f40, v64
	v_dual_mul_f32 v85, 0xbf4178ce, v29 :: v_dual_add_f32 v46, v46, v0
	v_dual_mul_f32 v87, 0xbf75a155, v31 :: v_dual_fmamk_f32 v116, v25, 0xbf75a155, v78
	v_mul_f32_e32 v89, 0xbf27a4f4, v31
	v_dual_mul_f32 v90, 0x3ed4b147, v31 :: v_dual_fmamk_f32 v91, v10, 0x3ed4b147, v34
	v_mul_f32_e32 v31, 0xbe11bafb, v31
	v_dual_fmac_f32 v33, 0xbf0a6770, v12 :: v_dual_fmamk_f32 v126, v32, 0xbf0a6770, v88
	v_dual_fmamk_f32 v92, v12, 0x3f68dda4, v35 :: v_dual_add_f32 v7, v7, v0
	v_fma_f32 v34, 0x3ed4b147, v10, -v34
	v_mul_f32_e32 v21, 0xbf27a4f4, v21
	v_dual_fmac_f32 v35, 0xbf68dda4, v12 :: v_dual_fmamk_f32 v110, v23, 0xbf68dda4, v72
	v_fma_f32 v44, 0xbe11bafb, v10, -v44
	v_mul_f32_e32 v79, 0xbf27a4f4, v27
	v_dual_fmamk_f32 v96, v12, 0x3f4178ce, v47 :: v_dual_add_f32 v17, v17, v0
	v_dual_fmac_f32 v47, 0xbf4178ce, v12 :: v_dual_add_f32 v2, v2, v3
	v_fmamk_f32 v98, v12, 0x3e903f40, v11
	v_fma_f32 v10, 0xbf75a155, v10, -v13
	v_dual_fmac_f32 v11, 0xbe903f40, v12 :: v_dual_fmamk_f32 v108, v23, 0xbe903f40, v70
	v_fmamk_f32 v12, v14, 0x3ed4b147, v48
	v_dual_mul_f32 v86, 0x3f68dda4, v29 :: v_dual_fmamk_f32 v13, v16, 0x3f68dda4, v49
	v_mul_f32_e32 v27, 0x3ed4b147, v27
	v_mul_f32_e32 v29, 0xbf7d64f0, v29
	v_fma_f32 v48, 0x3ed4b147, v14, -v48
	v_dual_fmamk_f32 v100, v16, 0x3f4178ce, v54 :: v_dual_add_f32 v33, v33, v1
	v_fmac_f32_e32 v54, 0xbf4178ce, v16
	v_fmamk_f32 v99, v14, 0xbf27a4f4, v53
	v_fma_f32 v53, 0xbf27a4f4, v14, -v53
	v_fmamk_f32 v101, v14, 0xbf75a155, v63
	v_fma_f32 v63, 0xbf75a155, v14, -v63
	v_fmac_f32_e32 v64, 0x3e903f40, v16
	v_dual_fmamk_f32 v103, v14, 0xbe11bafb, v65 :: v_dual_fmamk_f32 v114, v25, 0xbe11bafb, v76
	v_fma_f32 v65, 0xbe11bafb, v14, -v65
	v_dual_fmamk_f32 v120, v28, 0x3e903f40, v82 :: v_dual_add_f32 v45, v45, v1
	v_fmamk_f32 v105, v14, 0x3f575c64, v19
	v_fma_f32 v14, 0x3f575c64, v14, -v19
	v_dual_fmamk_f32 v19, v23, 0x3f7d64f0, v68 :: v_dual_add_f32 v6, v6, v56
	v_dual_fmac_f32 v49, 0xbf68dda4, v16 :: v_dual_fmamk_f32 v128, v32, 0xbf68dda4, v90
	v_fmac_f32_e32 v66, 0x3f7d64f0, v16
	s_delay_alu instid0(VALU_DEP_3)
	v_dual_fmac_f32 v15, 0x3f0a6770, v16 :: v_dual_add_f32 v6, v6, v57
	v_fmamk_f32 v16, v20, 0xbe11bafb, v67
	v_fma_f32 v67, 0xbe11bafb, v20, -v67
	v_fmac_f32_e32 v68, 0xbf7d64f0, v23
	v_fmac_f32_e32 v70, 0x3e903f40, v23
	v_fmamk_f32 v107, v20, 0xbf75a155, v69
	v_fma_f32 v69, 0xbf75a155, v20, -v69
	v_dual_fmamk_f32 v109, v20, 0x3ed4b147, v71 :: v_dual_add_f32 v2, v2, v8
	v_fma_f32 v71, 0x3ed4b147, v20, -v71
	v_fmamk_f32 v113, v20, 0xbf27a4f4, v24
	v_fma_f32 v76, 0xbe11bafb, v25, -v76
	v_fmamk_f32 v115, v25, 0x3f575c64, v77
	v_fma_f32 v77, 0x3f575c64, v25, -v77
	v_fma_f32 v78, 0xbf75a155, v25, -v78
	v_dual_fmamk_f32 v117, v25, 0x3ed4b147, v26 :: v_dual_add_f32 v6, v6, v58
	v_dual_fmac_f32 v80, 0x3f7d64f0, v28 :: v_dual_add_f32 v35, v35, v1
	v_fmamk_f32 v111, v20, 0x3f575c64, v73
	v_fma_f32 v73, 0x3f575c64, v20, -v73
	v_fma_f32 v20, 0xbf27a4f4, v20, -v24
	v_dual_fmamk_f32 v119, v28, 0x3f0a6770, v81 :: v_dual_fmac_f32 v88, 0x3f0a6770, v32
	v_fmac_f32_e32 v81, 0xbf0a6770, v28
	v_fmac_f32_e32 v82, 0xbe903f40, v28
	v_fma_f32 v84, 0x3f575c64, v30, -v84
	v_fmamk_f32 v123, v30, 0xbf27a4f4, v85
	v_fma_f32 v85, 0xbf27a4f4, v30, -v85
	v_fmamk_f32 v124, v30, 0x3ed4b147, v86
	v_fmac_f32_e32 v72, 0x3f68dda4, v23
	v_fmamk_f32 v121, v28, 0xbf68dda4, v27
	v_fmac_f32_e32 v27, 0x3f68dda4, v28
	v_fma_f32 v86, 0x3ed4b147, v30, -v86
	v_fmamk_f32 v125, v30, 0xbe11bafb, v29
	v_fma_f32 v29, 0xbe11bafb, v30, -v29
	v_fmamk_f32 v127, v32, 0x3f4178ce, v89
	v_fmac_f32_e32 v90, 0x3f68dda4, v32
	v_fmamk_f32 v129, v32, 0x3f7d64f0, v31
	v_fmac_f32_e32 v31, 0xbf7d64f0, v32
	v_add_f32_e32 v34, v34, v0
	v_fmamk_f32 v24, v23, 0x3f4178ce, v21
	v_dual_fmac_f32 v21, 0xbf4178ce, v23 :: v_dual_add_f32 v46, v65, v46
	v_fmamk_f32 v23, v25, 0xbf27a4f4, v75
	v_fma_f32 v75, 0xbf27a4f4, v25, -v75
	v_fma_f32 v25, 0x3ed4b147, v25, -v26
	v_fmac_f32_e32 v89, 0xbf4178ce, v32
	v_add_f32_e32 v44, v44, v0
	v_fmamk_f32 v26, v28, 0x3f4178ce, v79
	v_dual_fmac_f32 v79, 0xbf4178ce, v28 :: v_dual_add_f32 v2, v2, v9
	v_dual_fmamk_f32 v28, v30, 0xbf75a155, v83 :: v_dual_add_f32 v47, v47, v1
	v_fma_f32 v83, 0xbf75a155, v30, -v83
	v_dual_fmamk_f32 v30, v32, 0x3e903f40, v87 :: v_dual_add_f32 v3, v98, v1
	v_dual_fmac_f32 v87, 0xbe903f40, v32 :: v_dual_add_f32 v32, v55, v1
	v_add_f32_e32 v55, v91, v0
	v_dual_add_f32 v91, v92, v1 :: v_dual_add_f32 v92, v93, v0
	v_add_f32_e32 v93, v94, v1
	v_dual_add_f32 v7, v12, v7 :: v_dual_add_f32 v2, v2, v4
	;; [unrolled: 2-line block ×5, first 2 shown]
	v_add_f32_e32 v6, v6, v59
	v_add_f32_e32 v48, v104, v95
	v_dual_add_f32 v0, v14, v0 :: v_dual_add_f32 v11, v49, v33
	v_add_f32_e32 v7, v16, v7
	v_add_f32_e32 v33, v101, v92
	;; [unrolled: 1-line block ×5, first 2 shown]
	s_delay_alu instid0(VALU_DEP_4)
	v_dual_add_f32 v4, v23, v7 :: v_dual_add_f32 v15, v109, v33
	v_add_f32_e32 v33, v112, v48
	v_add_f32_e32 v3, v106, v3
	;; [unrolled: 1-line block ×7, first 2 shown]
	v_dual_add_f32 v9, v67, v10 :: v_dual_add_f32 v10, v68, v11
	v_add_f32_e32 v11, v107, v12
	s_delay_alu instid0(VALU_DEP_3) | instskip(NEXT) | instid1(VALU_DEP_3)
	v_dual_add_f32 v35, v63, v44 :: v_dual_add_f32 v26, v121, v3
	v_dual_add_f32 v13, v100, v91 :: v_dual_add_f32 v8, v75, v9
	v_add_f32_e32 v44, v64, v45
	v_add_f32_e32 v14, v70, v32
	s_delay_alu instid0(VALU_DEP_3)
	v_dual_add_f32 v25, v25, v0 :: v_dual_add_f32 v12, v108, v13
	v_dual_add_f32 v13, v69, v17 :: v_dual_add_f32 v0, v28, v4
	v_add_f32_e32 v45, v103, v94
	v_dual_add_f32 v33, v2, v5 :: v_dual_add_f32 v2, v83, v8
	v_dual_add_f32 v49, v105, v96 :: v_dual_add_f32 v16, v110, v34
	;; [unrolled: 1-line block ×4, first 2 shown]
	v_add_f32_e32 v17, v71, v35
	v_dual_add_f32 v47, v66, v47 :: v_dual_add_f32 v32, v111, v45
	v_dual_add_f32 v13, v80, v14 :: v_dual_add_f32 v14, v115, v15
	;; [unrolled: 1-line block ×4, first 2 shown]
	s_delay_alu instid0(VALU_DEP_4) | instskip(NEXT) | instid1(VALU_DEP_3)
	v_dual_add_f32 v16, v77, v17 :: v_dual_add_f32 v35, v74, v47
	v_add_f32_e32 v24, v117, v44
	s_delay_alu instid0(VALU_DEP_4)
	v_dual_add_f32 v8, v123, v14 :: v_dual_add_f32 v17, v81, v19
	v_add_f32_e32 v19, v116, v32
	v_add_f32_e32 v1, v21, v1
	;; [unrolled: 1-line block ×6, first 2 shown]
	v_dual_add_f32 v12, v124, v19 :: v_dual_add_f32 v27, v27, v1
	v_dual_add_f32 v10, v85, v16 :: v_dual_add_f32 v23, v82, v35
	v_add_f32_e32 v1, v30, v7
	v_add_f32_e32 v5, v126, v11
	;; [unrolled: 1-line block ×3, first 2 shown]
	v_dual_add_f32 v13, v128, v20 :: v_dual_add_f32 v14, v86, v21
	v_dual_add_f32 v20, v32, v61 :: v_dual_add_f32 v21, v33, v18
	v_add_f32_e32 v18, v29, v25
	v_add_f32_e32 v3, v87, v9
	;; [unrolled: 1-line block ×8, first 2 shown]
	ds_store_2addr_b64 v50, v[4:5], v[8:9] offset0:96 offset1:144
	v_add_f32_e32 v4, v20, v62
	v_add_f32_e32 v5, v21, v22
	ds_store_2addr_b64 v50, v[12:13], v[16:17] offset0:192 offset1:240
	ds_store_2addr_b64 v39, v[18:19], v[14:15] offset0:32 offset1:80
	;; [unrolled: 1-line block ×3, first 2 shown]
	ds_store_b64 v50, v[2:3] offset:3840
	ds_store_2addr_b64 v50, v[4:5], v[0:1] offset1:48
	s_waitcnt lgkmcnt(0)
	s_barrier
	buffer_gl0_inv
	ds_load_b64 v[2:3], v50
	v_lshlrev_b32_e32 v0, 3, v38
                                        ; implicit-def: $vgpr6
                                        ; implicit-def: $vgpr5
	s_delay_alu instid0(VALU_DEP_1)
	v_sub_nc_u32_e32 v4, 0, v0
                                        ; implicit-def: $vgpr0_vgpr1
	v_cmpx_ne_u32_e32 0, v38
	s_xor_b32 s5, exec_lo, s5
	s_cbranch_execz .LBB0_25
; %bb.24:
	ds_load_b64 v[5:6], v4 offset:4224
	s_waitcnt lgkmcnt(0)
	v_dual_mov_b32 v39, 0 :: v_dual_add_f32 v8, v6, v3
	s_delay_alu instid0(VALU_DEP_1) | instskip(SKIP_1) | instid1(VALU_DEP_1)
	v_lshlrev_b64 v[0:1], 3, v[38:39]
	v_dual_sub_f32 v7, v2, v5 :: v_dual_add_f32 v2, v5, v2
	v_dual_sub_f32 v3, v3, v6 :: v_dual_mul_f32 v6, 0.5, v7
	s_delay_alu instid0(VALU_DEP_3) | instskip(NEXT) | instid1(VALU_DEP_1)
	v_add_co_u32 v0, s0, s1, v0
	v_add_co_ci_u32_e64 v1, s0, s4, v1, s0
	s_delay_alu instid0(VALU_DEP_3) | instskip(SKIP_3) | instid1(VALU_DEP_1)
	v_mul_f32_e32 v3, 0.5, v3
	global_load_b64 v[0:1], v[0:1], off
	s_waitcnt vmcnt(0)
	v_dual_mul_f32 v7, 0.5, v8 :: v_dual_mul_f32 v8, v1, v6
	v_fma_f32 v9, v7, v1, v3
	v_fma_f32 v1, v7, v1, -v3
	s_delay_alu instid0(VALU_DEP_3) | instskip(SKIP_1) | instid1(VALU_DEP_4)
	v_fma_f32 v5, 0.5, v2, v8
	v_fma_f32 v2, v2, 0.5, -v8
	v_fma_f32 v3, -v0, v6, v9
	s_delay_alu instid0(VALU_DEP_4)
	v_fma_f32 v8, -v0, v6, v1
	ds_store_b32 v50, v3 offset:4
	ds_store_b32 v4, v8 offset:4228
	v_fmac_f32_e32 v5, v0, v7
	v_fma_f32 v6, -v0, v7, v2
	v_dual_mov_b32 v0, v38 :: v_dual_mov_b32 v1, v39
                                        ; implicit-def: $vgpr2_vgpr3
.LBB0_25:
	s_and_not1_saveexec_b32 s0, s5
	s_cbranch_execz .LBB0_27
; %bb.26:
	v_mov_b32_e32 v7, 0
	s_waitcnt lgkmcnt(0)
	v_add_f32_e32 v5, v2, v3
	ds_store_b32 v50, v7 offset:4
	ds_store_b32 v4, v7 offset:4228
	ds_load_b32 v0, v7 offset:2116
	v_sub_f32_e32 v6, v2, v3
	s_waitcnt lgkmcnt(0)
	v_xor_b32_e32 v8, 0x80000000, v0
	v_mov_b32_e32 v0, 0
	v_mov_b32_e32 v1, 0
	ds_store_b32 v7, v8 offset:2116
.LBB0_27:
	s_or_b32 exec_lo, exec_lo, s0
	v_mov_b32_e32 v44, 0
	v_lshlrev_b64 v[0:1], 3, v[0:1]
	s_waitcnt lgkmcnt(0)
	s_delay_alu instid0(VALU_DEP_2) | instskip(SKIP_1) | instid1(VALU_DEP_1)
	v_lshlrev_b64 v[2:3], 3, v[43:44]
	v_mov_b32_e32 v43, v44
	v_lshlrev_b64 v[7:8], 3, v[42:43]
	s_delay_alu instid0(VALU_DEP_3) | instskip(NEXT) | instid1(VALU_DEP_1)
	v_add_co_u32 v2, s0, s1, v2
	v_add_co_ci_u32_e64 v3, s0, s4, v3, s0
	s_delay_alu instid0(VALU_DEP_3) | instskip(SKIP_3) | instid1(VALU_DEP_1)
	v_add_co_u32 v7, s0, s1, v7
	global_load_b64 v[2:3], v[2:3], off
	v_add_co_ci_u32_e64 v8, s0, s4, v8, s0
	v_add_co_u32 v0, s0, s1, v0
	v_add_co_ci_u32_e64 v1, s0, s4, v1, s0
	s_clause 0x2
	global_load_b64 v[7:8], v[7:8], off
	global_load_b64 v[9:10], v[0:1], off offset:1152
	global_load_b64 v[11:12], v[0:1], off offset:1536
	ds_store_b32 v50, v5
	ds_store_b32 v4, v6 offset:4224
	ds_load_b64 v[5:6], v52
	ds_load_b64 v[13:14], v4 offset:3840
	s_mov_b32 s1, exec_lo
	s_waitcnt lgkmcnt(0)
	v_dual_sub_f32 v15, v5, v13 :: v_dual_add_f32 v16, v6, v14
	v_dual_sub_f32 v6, v6, v14 :: v_dual_add_f32 v13, v5, v13
	s_delay_alu instid0(VALU_DEP_2) | instskip(SKIP_1) | instid1(VALU_DEP_1)
	v_dual_mul_f32 v14, 0.5, v15 :: v_dual_mul_f32 v15, 0.5, v16
	s_waitcnt vmcnt(3)
	v_mul_f32_e32 v16, v3, v14
	s_delay_alu instid0(VALU_DEP_1) | instskip(SKIP_2) | instid1(VALU_DEP_3)
	v_fma_f32 v5, 0.5, v13, v16
	v_mul_f32_e32 v6, 0.5, v6
	v_fma_f32 v13, v13, 0.5, -v16
	v_fmac_f32_e32 v5, v2, v15
	s_delay_alu instid0(VALU_DEP_3) | instskip(SKIP_1) | instid1(VALU_DEP_2)
	v_fma_f32 v17, v15, v3, v6
	v_fma_f32 v3, v15, v3, -v6
	v_fma_f32 v6, -v2, v14, v17
	s_delay_alu instid0(VALU_DEP_2)
	v_fma_f32 v3, -v2, v14, v3
	v_fma_f32 v2, -v2, v15, v13
	ds_store_b64 v52, v[5:6]
	ds_store_b64 v4, v[2:3] offset:3840
	ds_load_b64 v[2:3], v51
	ds_load_b64 v[5:6], v4 offset:3456
	s_waitcnt lgkmcnt(0)
	v_dual_sub_f32 v13, v2, v5 :: v_dual_add_f32 v14, v3, v6
	s_delay_alu instid0(VALU_DEP_1) | instskip(SKIP_1) | instid1(VALU_DEP_2)
	v_dual_sub_f32 v3, v3, v6 :: v_dual_mul_f32 v6, 0.5, v13
	v_add_f32_e32 v5, v2, v5
	v_mul_f32_e32 v3, 0.5, v3
	s_delay_alu instid0(VALU_DEP_4) | instskip(SKIP_2) | instid1(VALU_DEP_2)
	v_mul_f32_e32 v13, 0.5, v14
	s_waitcnt vmcnt(2)
	v_mul_f32_e32 v14, v8, v6
	v_fma_f32 v15, v13, v8, v3
	v_fma_f32 v8, v13, v8, -v3
	s_delay_alu instid0(VALU_DEP_3) | instskip(SKIP_1) | instid1(VALU_DEP_4)
	v_fma_f32 v2, 0.5, v5, v14
	v_fma_f32 v5, v5, 0.5, -v14
	v_fma_f32 v3, -v7, v6, v15
	s_delay_alu instid0(VALU_DEP_4) | instskip(NEXT) | instid1(VALU_DEP_4)
	v_fma_f32 v6, -v7, v6, v8
	v_fmac_f32_e32 v2, v7, v13
	s_delay_alu instid0(VALU_DEP_4)
	v_fma_f32 v5, -v7, v13, v5
	ds_store_b64 v51, v[2:3]
	ds_store_b64 v4, v[5:6] offset:3456
	ds_load_b64 v[2:3], v50 offset:1152
	ds_load_b64 v[5:6], v4 offset:3072
	s_waitcnt lgkmcnt(0)
	v_dual_sub_f32 v7, v2, v5 :: v_dual_add_f32 v8, v3, v6
	v_sub_f32_e32 v3, v3, v6
	s_delay_alu instid0(VALU_DEP_2) | instskip(SKIP_1) | instid1(VALU_DEP_1)
	v_dual_add_f32 v5, v2, v5 :: v_dual_mul_f32 v6, 0.5, v7
	s_waitcnt vmcnt(1)
	v_dual_mul_f32 v7, 0.5, v8 :: v_dual_mul_f32 v8, v10, v6
	s_delay_alu instid0(VALU_DEP_1) | instskip(SKIP_1) | instid1(VALU_DEP_2)
	v_fma_f32 v2, 0.5, v5, v8
	v_fma_f32 v5, v5, 0.5, -v8
	v_fmac_f32_e32 v2, v9, v7
	v_mul_f32_e32 v3, 0.5, v3
	s_delay_alu instid0(VALU_DEP_3) | instskip(NEXT) | instid1(VALU_DEP_2)
	v_fma_f32 v5, -v9, v7, v5
	v_fma_f32 v13, v7, v10, v3
	v_fma_f32 v10, v7, v10, -v3
	s_delay_alu instid0(VALU_DEP_2) | instskip(NEXT) | instid1(VALU_DEP_2)
	v_fma_f32 v3, -v9, v6, v13
	v_fma_f32 v6, -v9, v6, v10
	ds_store_b64 v50, v[2:3] offset:1152
	ds_store_b64 v4, v[5:6] offset:3072
	ds_load_b64 v[2:3], v50 offset:1536
	ds_load_b64 v[5:6], v4 offset:2688
	s_waitcnt lgkmcnt(0)
	v_dual_sub_f32 v7, v2, v5 :: v_dual_add_f32 v8, v3, v6
	s_delay_alu instid0(VALU_DEP_1) | instskip(NEXT) | instid1(VALU_DEP_2)
	v_dual_sub_f32 v3, v3, v6 :: v_dual_mul_f32 v6, 0.5, v7
	v_mul_f32_e32 v7, 0.5, v8
	v_add_f32_e32 v5, v2, v5
	s_waitcnt vmcnt(0)
	s_delay_alu instid0(VALU_DEP_3) | instskip(NEXT) | instid1(VALU_DEP_1)
	v_dual_mul_f32 v3, 0.5, v3 :: v_dual_mul_f32 v8, v12, v6
	v_fma_f32 v9, v7, v12, v3
	v_fma_f32 v10, v7, v12, -v3
	s_delay_alu instid0(VALU_DEP_3) | instskip(NEXT) | instid1(VALU_DEP_3)
	v_fma_f32 v2, 0.5, v5, v8
	v_fma_f32 v3, -v11, v6, v9
	s_delay_alu instid0(VALU_DEP_3) | instskip(NEXT) | instid1(VALU_DEP_3)
	v_fma_f32 v6, -v11, v6, v10
	v_fmac_f32_e32 v2, v11, v7
	v_fma_f32 v5, v5, 0.5, -v8
	s_delay_alu instid0(VALU_DEP_1)
	v_fma_f32 v5, -v11, v7, v5
	ds_store_b64 v50, v[2:3] offset:1536
	ds_store_b64 v4, v[5:6] offset:2688
	v_cmpx_gt_u32_e32 24, v38
	s_cbranch_execz .LBB0_29
; %bb.28:
	global_load_b64 v[0:1], v[0:1], off offset:1920
	ds_load_b64 v[2:3], v50 offset:1920
	ds_load_b64 v[5:6], v4 offset:2304
	s_waitcnt lgkmcnt(0)
	v_dual_sub_f32 v7, v2, v5 :: v_dual_add_f32 v8, v3, v6
	v_dual_sub_f32 v3, v3, v6 :: v_dual_add_f32 v2, v2, v5
	s_delay_alu instid0(VALU_DEP_2) | instskip(NEXT) | instid1(VALU_DEP_2)
	v_dual_mul_f32 v6, 0.5, v7 :: v_dual_mul_f32 v7, 0.5, v8
	v_mul_f32_e32 v3, 0.5, v3
	s_waitcnt vmcnt(0)
	s_delay_alu instid0(VALU_DEP_2) | instskip(NEXT) | instid1(VALU_DEP_2)
	v_mul_f32_e32 v5, v1, v6
	v_fma_f32 v8, v7, v1, v3
	v_fma_f32 v3, v7, v1, -v3
	s_delay_alu instid0(VALU_DEP_3) | instskip(SKIP_1) | instid1(VALU_DEP_4)
	v_fma_f32 v1, 0.5, v2, v5
	v_fma_f32 v5, v2, 0.5, -v5
	v_fma_f32 v2, -v0, v6, v8
	s_delay_alu instid0(VALU_DEP_4) | instskip(NEXT) | instid1(VALU_DEP_4)
	v_fma_f32 v6, -v0, v6, v3
	v_fmac_f32_e32 v1, v0, v7
	s_delay_alu instid0(VALU_DEP_4)
	v_fma_f32 v5, -v0, v7, v5
	ds_store_b64 v50, v[1:2] offset:1920
	ds_store_b64 v4, v[5:6] offset:2304
.LBB0_29:
	s_or_b32 exec_lo, exec_lo, s1
	s_waitcnt lgkmcnt(0)
	s_barrier
	buffer_gl0_inv
	s_and_saveexec_b32 s0, vcc_lo
	s_cbranch_execz .LBB0_32
; %bb.30:
	v_mul_lo_u32 v2, s3, v40
	v_mul_lo_u32 v3, s2, v41
	v_mad_u64_u32 v[0:1], null, s2, v40, 0
	v_dual_mov_b32 v39, 0 :: v_dual_add_nc_u32 v12, 48, v38
	v_lshlrev_b64 v[10:11], 3, v[36:37]
	v_lshl_add_u32 v28, v38, 3, 0
	s_delay_alu instid0(VALU_DEP_3)
	v_dual_mov_b32 v13, v39 :: v_dual_add_nc_u32 v14, 0x60, v38
	v_add3_u32 v1, v1, v3, v2
	v_lshlrev_b64 v[16:17], 3, v[38:39]
	v_mov_b32_e32 v15, v39
	ds_load_2addr_b64 v[2:5], v28 offset1:48
	ds_load_2addr_b64 v[6:9], v28 offset0:96 offset1:144
	v_lshlrev_b64 v[0:1], 3, v[0:1]
	v_lshlrev_b64 v[12:13], 3, v[12:13]
	v_dual_mov_b32 v19, v39 :: v_dual_add_nc_u32 v20, 0xf0, v38
	v_dual_mov_b32 v21, v39 :: v_dual_add_nc_u32 v22, 0x1b0, v38
	v_mov_b32_e32 v27, v39
	v_add_co_u32 v0, vcc_lo, s6, v0
	v_add_co_ci_u32_e32 v1, vcc_lo, s7, v1, vcc_lo
	v_add_nc_u32_e32 v18, 0xc0, v38
	s_delay_alu instid0(VALU_DEP_3) | instskip(NEXT) | instid1(VALU_DEP_3)
	v_add_co_u32 v0, vcc_lo, v0, v10
	v_add_co_ci_u32_e32 v1, vcc_lo, v1, v11, vcc_lo
	v_lshlrev_b64 v[10:11], 3, v[14:15]
	s_delay_alu instid0(VALU_DEP_3) | instskip(NEXT) | instid1(VALU_DEP_3)
	v_add_co_u32 v14, vcc_lo, v0, v16
	v_add_co_ci_u32_e32 v15, vcc_lo, v1, v17, vcc_lo
	v_dual_mov_b32 v17, v39 :: v_dual_add_nc_u32 v16, 0x90, v38
	v_add_co_u32 v12, vcc_lo, v0, v12
	v_add_co_ci_u32_e32 v13, vcc_lo, v1, v13, vcc_lo
	s_delay_alu instid0(VALU_DEP_3) | instskip(SKIP_3) | instid1(VALU_DEP_4)
	v_lshlrev_b64 v[16:17], 3, v[16:17]
	v_add_co_u32 v10, vcc_lo, v0, v10
	v_add_co_ci_u32_e32 v11, vcc_lo, v1, v11, vcc_lo
	v_add_nc_u32_e32 v26, 0x800, v28
	v_add_co_u32 v16, vcc_lo, v0, v16
	v_add_co_ci_u32_e32 v17, vcc_lo, v1, v17, vcc_lo
	s_waitcnt lgkmcnt(1)
	s_clause 0x1
	global_store_b64 v[14:15], v[2:3], off
	global_store_b64 v[12:13], v[4:5], off
	s_waitcnt lgkmcnt(0)
	s_clause 0x1
	global_store_b64 v[10:11], v[6:7], off
	global_store_b64 v[16:17], v[8:9], off
	v_lshlrev_b64 v[6:7], 3, v[18:19]
	v_dual_mov_b32 v11, v39 :: v_dual_add_nc_u32 v10, 0x120, v38
	v_lshlrev_b64 v[8:9], 3, v[20:21]
	v_dual_mov_b32 v13, v39 :: v_dual_add_nc_u32 v12, 0x150, v38
	s_delay_alu instid0(VALU_DEP_4) | instskip(NEXT) | instid1(VALU_DEP_4)
	v_add_co_u32 v14, vcc_lo, v0, v6
	v_lshlrev_b64 v[10:11], 3, v[10:11]
	v_add_co_ci_u32_e32 v15, vcc_lo, v1, v7, vcc_lo
	v_add_co_u32 v16, vcc_lo, v0, v8
	v_add_co_ci_u32_e32 v17, vcc_lo, v1, v9, vcc_lo
	s_delay_alu instid0(VALU_DEP_4)
	v_add_co_u32 v18, vcc_lo, v0, v10
	v_add_co_ci_u32_e32 v19, vcc_lo, v1, v11, vcc_lo
	v_lshlrev_b64 v[10:11], 3, v[12:13]
	v_dual_mov_b32 v23, v39 :: v_dual_add_nc_u32 v20, 0x180, v38
	ds_load_2addr_b64 v[2:5], v28 offset0:192 offset1:240
	ds_load_2addr_b64 v[6:9], v26 offset0:32 offset1:80
	ds_load_b64 v[28:29], v28 offset:3840
	v_add_co_u32 v24, vcc_lo, v0, v10
	v_lshlrev_b64 v[20:21], 3, v[20:21]
	v_add_co_ci_u32_e32 v25, vcc_lo, v1, v11, vcc_lo
	ds_load_2addr_b64 v[10:13], v26 offset0:128 offset1:176
	v_add_nc_u32_e32 v26, 0x1e0, v38
	v_lshlrev_b64 v[22:23], 3, v[22:23]
	v_add_co_u32 v20, vcc_lo, v0, v20
	v_add_co_ci_u32_e32 v21, vcc_lo, v1, v21, vcc_lo
	s_delay_alu instid0(VALU_DEP_4) | instskip(NEXT) | instid1(VALU_DEP_4)
	v_lshlrev_b64 v[26:27], 3, v[26:27]
	v_add_co_u32 v22, vcc_lo, v0, v22
	v_add_co_ci_u32_e32 v23, vcc_lo, v1, v23, vcc_lo
	s_delay_alu instid0(VALU_DEP_3) | instskip(NEXT) | instid1(VALU_DEP_4)
	v_add_co_u32 v26, vcc_lo, v0, v26
	v_add_co_ci_u32_e32 v27, vcc_lo, v1, v27, vcc_lo
	v_cmp_eq_u32_e32 vcc_lo, 47, v38
	s_waitcnt lgkmcnt(3)
	s_clause 0x1
	global_store_b64 v[14:15], v[2:3], off
	global_store_b64 v[16:17], v[4:5], off
	s_waitcnt lgkmcnt(2)
	s_clause 0x1
	global_store_b64 v[18:19], v[6:7], off
	global_store_b64 v[24:25], v[8:9], off
	;; [unrolled: 4-line block ×3, first 2 shown]
	global_store_b64 v[26:27], v[28:29], off
	s_and_b32 exec_lo, exec_lo, vcc_lo
	s_cbranch_execz .LBB0_32
; %bb.31:
	ds_load_b64 v[2:3], v39 offset:4224
	v_add_co_u32 v0, vcc_lo, 0x1000, v0
	v_add_co_ci_u32_e32 v1, vcc_lo, 0, v1, vcc_lo
	s_waitcnt lgkmcnt(0)
	global_store_b64 v[0:1], v[2:3], off offset:128
.LBB0_32:
	s_nop 0
	s_sendmsg sendmsg(MSG_DEALLOC_VGPRS)
	s_endpgm
	.section	.rodata,"a",@progbits
	.p2align	6, 0x0
	.amdhsa_kernel fft_rtc_back_len528_factors_4_4_3_11_wgs_48_tpt_48_halfLds_sp_op_CI_CI_unitstride_sbrr_R2C_dirReg
		.amdhsa_group_segment_fixed_size 0
		.amdhsa_private_segment_fixed_size 0
		.amdhsa_kernarg_size 104
		.amdhsa_user_sgpr_count 15
		.amdhsa_user_sgpr_dispatch_ptr 0
		.amdhsa_user_sgpr_queue_ptr 0
		.amdhsa_user_sgpr_kernarg_segment_ptr 1
		.amdhsa_user_sgpr_dispatch_id 0
		.amdhsa_user_sgpr_private_segment_size 0
		.amdhsa_wavefront_size32 1
		.amdhsa_uses_dynamic_stack 0
		.amdhsa_enable_private_segment 0
		.amdhsa_system_sgpr_workgroup_id_x 1
		.amdhsa_system_sgpr_workgroup_id_y 0
		.amdhsa_system_sgpr_workgroup_id_z 0
		.amdhsa_system_sgpr_workgroup_info 0
		.amdhsa_system_vgpr_workitem_id 0
		.amdhsa_next_free_vgpr 130
		.amdhsa_next_free_sgpr 27
		.amdhsa_reserve_vcc 1
		.amdhsa_float_round_mode_32 0
		.amdhsa_float_round_mode_16_64 0
		.amdhsa_float_denorm_mode_32 3
		.amdhsa_float_denorm_mode_16_64 3
		.amdhsa_dx10_clamp 1
		.amdhsa_ieee_mode 1
		.amdhsa_fp16_overflow 0
		.amdhsa_workgroup_processor_mode 1
		.amdhsa_memory_ordered 1
		.amdhsa_forward_progress 0
		.amdhsa_shared_vgpr_count 0
		.amdhsa_exception_fp_ieee_invalid_op 0
		.amdhsa_exception_fp_denorm_src 0
		.amdhsa_exception_fp_ieee_div_zero 0
		.amdhsa_exception_fp_ieee_overflow 0
		.amdhsa_exception_fp_ieee_underflow 0
		.amdhsa_exception_fp_ieee_inexact 0
		.amdhsa_exception_int_div_zero 0
	.end_amdhsa_kernel
	.text
.Lfunc_end0:
	.size	fft_rtc_back_len528_factors_4_4_3_11_wgs_48_tpt_48_halfLds_sp_op_CI_CI_unitstride_sbrr_R2C_dirReg, .Lfunc_end0-fft_rtc_back_len528_factors_4_4_3_11_wgs_48_tpt_48_halfLds_sp_op_CI_CI_unitstride_sbrr_R2C_dirReg
                                        ; -- End function
	.section	.AMDGPU.csdata,"",@progbits
; Kernel info:
; codeLenInByte = 8052
; NumSgprs: 29
; NumVgprs: 130
; ScratchSize: 0
; MemoryBound: 0
; FloatMode: 240
; IeeeMode: 1
; LDSByteSize: 0 bytes/workgroup (compile time only)
; SGPRBlocks: 3
; VGPRBlocks: 16
; NumSGPRsForWavesPerEU: 29
; NumVGPRsForWavesPerEU: 130
; Occupancy: 10
; WaveLimiterHint : 1
; COMPUTE_PGM_RSRC2:SCRATCH_EN: 0
; COMPUTE_PGM_RSRC2:USER_SGPR: 15
; COMPUTE_PGM_RSRC2:TRAP_HANDLER: 0
; COMPUTE_PGM_RSRC2:TGID_X_EN: 1
; COMPUTE_PGM_RSRC2:TGID_Y_EN: 0
; COMPUTE_PGM_RSRC2:TGID_Z_EN: 0
; COMPUTE_PGM_RSRC2:TIDIG_COMP_CNT: 0
	.text
	.p2alignl 7, 3214868480
	.fill 96, 4, 3214868480
	.type	__hip_cuid_102117b7c4ad6e27,@object ; @__hip_cuid_102117b7c4ad6e27
	.section	.bss,"aw",@nobits
	.globl	__hip_cuid_102117b7c4ad6e27
__hip_cuid_102117b7c4ad6e27:
	.byte	0                               ; 0x0
	.size	__hip_cuid_102117b7c4ad6e27, 1

	.ident	"AMD clang version 19.0.0git (https://github.com/RadeonOpenCompute/llvm-project roc-6.4.0 25133 c7fe45cf4b819c5991fe208aaa96edf142730f1d)"
	.section	".note.GNU-stack","",@progbits
	.addrsig
	.addrsig_sym __hip_cuid_102117b7c4ad6e27
	.amdgpu_metadata
---
amdhsa.kernels:
  - .args:
      - .actual_access:  read_only
        .address_space:  global
        .offset:         0
        .size:           8
        .value_kind:     global_buffer
      - .offset:         8
        .size:           8
        .value_kind:     by_value
      - .actual_access:  read_only
        .address_space:  global
        .offset:         16
        .size:           8
        .value_kind:     global_buffer
      - .actual_access:  read_only
        .address_space:  global
        .offset:         24
        .size:           8
        .value_kind:     global_buffer
      - .actual_access:  read_only
        .address_space:  global
        .offset:         32
        .size:           8
        .value_kind:     global_buffer
      - .offset:         40
        .size:           8
        .value_kind:     by_value
      - .actual_access:  read_only
        .address_space:  global
        .offset:         48
        .size:           8
        .value_kind:     global_buffer
      - .actual_access:  read_only
        .address_space:  global
        .offset:         56
        .size:           8
        .value_kind:     global_buffer
      - .offset:         64
        .size:           4
        .value_kind:     by_value
      - .actual_access:  read_only
        .address_space:  global
        .offset:         72
        .size:           8
        .value_kind:     global_buffer
      - .actual_access:  read_only
        .address_space:  global
        .offset:         80
        .size:           8
        .value_kind:     global_buffer
      - .actual_access:  read_only
        .address_space:  global
        .offset:         88
        .size:           8
        .value_kind:     global_buffer
      - .actual_access:  write_only
        .address_space:  global
        .offset:         96
        .size:           8
        .value_kind:     global_buffer
    .group_segment_fixed_size: 0
    .kernarg_segment_align: 8
    .kernarg_segment_size: 104
    .language:       OpenCL C
    .language_version:
      - 2
      - 0
    .max_flat_workgroup_size: 48
    .name:           fft_rtc_back_len528_factors_4_4_3_11_wgs_48_tpt_48_halfLds_sp_op_CI_CI_unitstride_sbrr_R2C_dirReg
    .private_segment_fixed_size: 0
    .sgpr_count:     29
    .sgpr_spill_count: 0
    .symbol:         fft_rtc_back_len528_factors_4_4_3_11_wgs_48_tpt_48_halfLds_sp_op_CI_CI_unitstride_sbrr_R2C_dirReg.kd
    .uniform_work_group_size: 1
    .uses_dynamic_stack: false
    .vgpr_count:     130
    .vgpr_spill_count: 0
    .wavefront_size: 32
    .workgroup_processor_mode: 1
amdhsa.target:   amdgcn-amd-amdhsa--gfx1100
amdhsa.version:
  - 1
  - 2
...

	.end_amdgpu_metadata
